;; amdgpu-corpus repo=ROCm/rocFFT kind=compiled arch=gfx950 opt=O3
	.text
	.amdgcn_target "amdgcn-amd-amdhsa--gfx950"
	.amdhsa_code_object_version 6
	.protected	fft_rtc_back_len462_factors_11_6_7_wgs_231_tpt_77_sp_ip_CI_unitstride_sbrr_dirReg ; -- Begin function fft_rtc_back_len462_factors_11_6_7_wgs_231_tpt_77_sp_ip_CI_unitstride_sbrr_dirReg
	.globl	fft_rtc_back_len462_factors_11_6_7_wgs_231_tpt_77_sp_ip_CI_unitstride_sbrr_dirReg
	.p2align	8
	.type	fft_rtc_back_len462_factors_11_6_7_wgs_231_tpt_77_sp_ip_CI_unitstride_sbrr_dirReg,@function
fft_rtc_back_len462_factors_11_6_7_wgs_231_tpt_77_sp_ip_CI_unitstride_sbrr_dirReg: ; @fft_rtc_back_len462_factors_11_6_7_wgs_231_tpt_77_sp_ip_CI_unitstride_sbrr_dirReg
; %bb.0:
	s_load_dwordx2 s[8:9], s[0:1], 0x50
	s_load_dwordx4 s[4:7], s[0:1], 0x0
	s_load_dwordx2 s[10:11], s[0:1], 0x18
	v_mul_u32_u24_e32 v1, 0x354, v0
	v_lshrrev_b32_e32 v2, 16, v1
	v_mad_u64_u32 v[2:3], s[2:3], s2, 3, v[2:3]
	v_mov_b32_e32 v6, 0
	v_mov_b32_e32 v3, v6
	s_waitcnt lgkmcnt(0)
	v_cmp_lt_u64_e64 s[2:3], s[6:7], 2
	s_and_b64 vcc, exec, s[2:3]
	v_mov_b64_e32 v[4:5], 0
	v_mov_b64_e32 v[10:11], v[2:3]
	s_cbranch_vccnz .LBB0_8
; %bb.1:
	s_load_dwordx2 s[2:3], s[0:1], 0x10
	s_add_u32 s12, s10, 8
	s_addc_u32 s13, s11, 0
	s_mov_b64 s[14:15], 1
	v_mov_b64_e32 v[4:5], 0
	s_waitcnt lgkmcnt(0)
	s_add_u32 s16, s2, 8
	s_addc_u32 s17, s3, 0
	v_mov_b64_e32 v[8:9], v[2:3]
.LBB0_2:                                ; =>This Inner Loop Header: Depth=1
	s_load_dwordx2 s[18:19], s[16:17], 0x0
                                        ; implicit-def: $vgpr10_vgpr11
	s_waitcnt lgkmcnt(0)
	v_or_b32_e32 v7, s19, v9
	v_cmp_ne_u64_e32 vcc, 0, v[6:7]
	s_and_saveexec_b64 s[2:3], vcc
	s_xor_b64 s[20:21], exec, s[2:3]
	s_cbranch_execz .LBB0_4
; %bb.3:                                ;   in Loop: Header=BB0_2 Depth=1
	v_cvt_f32_u32_e32 v1, s18
	v_cvt_f32_u32_e32 v3, s19
	s_sub_u32 s2, 0, s18
	s_subb_u32 s3, 0, s19
	v_fmac_f32_e32 v1, 0x4f800000, v3
	v_rcp_f32_e32 v1, v1
	s_nop 0
	v_mul_f32_e32 v1, 0x5f7ffffc, v1
	v_mul_f32_e32 v3, 0x2f800000, v1
	v_trunc_f32_e32 v3, v3
	v_fmac_f32_e32 v1, 0xcf800000, v3
	v_cvt_u32_f32_e32 v3, v3
	v_cvt_u32_f32_e32 v1, v1
	v_mul_lo_u32 v7, s2, v3
	v_mul_hi_u32 v10, s2, v1
	v_mul_lo_u32 v11, s3, v1
	v_add_u32_e32 v7, v10, v7
	v_mul_lo_u32 v14, s2, v1
	v_add_u32_e32 v7, v7, v11
	v_mul_hi_u32 v10, v1, v14
	v_mul_hi_u32 v13, v1, v7
	v_mul_lo_u32 v12, v1, v7
	v_mov_b32_e32 v11, v6
	v_lshl_add_u64 v[10:11], v[10:11], 0, v[12:13]
	v_mul_hi_u32 v13, v3, v14
	v_mul_lo_u32 v14, v3, v14
	v_add_co_u32_e32 v10, vcc, v10, v14
	v_mul_hi_u32 v12, v3, v7
	s_nop 0
	v_addc_co_u32_e32 v10, vcc, v11, v13, vcc
	v_mov_b32_e32 v11, v6
	s_nop 0
	v_addc_co_u32_e32 v13, vcc, 0, v12, vcc
	v_mul_lo_u32 v12, v3, v7
	v_lshl_add_u64 v[10:11], v[10:11], 0, v[12:13]
	v_add_co_u32_e32 v1, vcc, v1, v10
	v_mul_hi_u32 v10, s2, v1
	s_nop 0
	v_addc_co_u32_e32 v3, vcc, v3, v11, vcc
	v_mul_lo_u32 v7, s2, v3
	v_add_u32_e32 v7, v10, v7
	v_mul_lo_u32 v10, s3, v1
	v_add_u32_e32 v7, v7, v10
	v_mul_lo_u32 v12, s2, v1
	v_mul_hi_u32 v15, v3, v12
	v_mul_lo_u32 v16, v3, v12
	v_mul_hi_u32 v11, v1, v7
	;; [unrolled: 2-line block ×3, first 2 shown]
	v_mov_b32_e32 v13, v6
	v_lshl_add_u64 v[10:11], v[12:13], 0, v[10:11]
	v_add_co_u32_e32 v10, vcc, v10, v16
	v_mul_hi_u32 v14, v3, v7
	s_nop 0
	v_addc_co_u32_e32 v10, vcc, v11, v15, vcc
	v_mul_lo_u32 v12, v3, v7
	s_nop 0
	v_addc_co_u32_e32 v13, vcc, 0, v14, vcc
	v_mov_b32_e32 v11, v6
	v_lshl_add_u64 v[10:11], v[10:11], 0, v[12:13]
	v_add_co_u32_e32 v1, vcc, v1, v10
	v_mul_hi_u32 v12, v8, v1
	s_nop 0
	v_addc_co_u32_e32 v3, vcc, v3, v11, vcc
	v_mad_u64_u32 v[10:11], s[2:3], v8, v3, 0
	v_mov_b32_e32 v13, v6
	v_lshl_add_u64 v[10:11], v[12:13], 0, v[10:11]
	v_mad_u64_u32 v[14:15], s[2:3], v9, v1, 0
	v_add_co_u32_e32 v1, vcc, v10, v14
	v_mad_u64_u32 v[12:13], s[2:3], v9, v3, 0
	s_nop 0
	v_addc_co_u32_e32 v10, vcc, v11, v15, vcc
	v_mov_b32_e32 v11, v6
	s_nop 0
	v_addc_co_u32_e32 v13, vcc, 0, v13, vcc
	v_lshl_add_u64 v[10:11], v[10:11], 0, v[12:13]
	v_mul_lo_u32 v1, s19, v10
	v_mul_lo_u32 v3, s18, v11
	v_mad_u64_u32 v[12:13], s[2:3], s18, v10, 0
	v_add3_u32 v1, v13, v3, v1
	v_sub_u32_e32 v3, v9, v1
	v_mov_b32_e32 v7, s19
	v_sub_co_u32_e32 v16, vcc, v8, v12
	v_lshl_add_u64 v[14:15], v[10:11], 0, 1
	s_nop 0
	v_subb_co_u32_e64 v3, s[2:3], v3, v7, vcc
	v_subrev_co_u32_e64 v7, s[2:3], s18, v16
	v_subb_co_u32_e32 v1, vcc, v9, v1, vcc
	s_nop 0
	v_subbrev_co_u32_e64 v3, s[2:3], 0, v3, s[2:3]
	v_cmp_le_u32_e64 s[2:3], s19, v3
	v_cmp_le_u32_e32 vcc, s19, v1
	s_nop 0
	v_cndmask_b32_e64 v12, 0, -1, s[2:3]
	v_cmp_le_u32_e64 s[2:3], s18, v7
	s_nop 1
	v_cndmask_b32_e64 v7, 0, -1, s[2:3]
	v_cmp_eq_u32_e64 s[2:3], s19, v3
	s_nop 1
	v_cndmask_b32_e64 v3, v12, v7, s[2:3]
	v_lshl_add_u64 v[12:13], v[10:11], 0, 2
	v_cmp_ne_u32_e64 s[2:3], 0, v3
	v_cndmask_b32_e64 v7, 0, -1, vcc
	v_cmp_le_u32_e32 vcc, s18, v16
	v_cndmask_b32_e64 v3, v15, v13, s[2:3]
	s_nop 0
	v_cndmask_b32_e64 v13, 0, -1, vcc
	v_cmp_eq_u32_e32 vcc, s19, v1
	s_nop 1
	v_cndmask_b32_e32 v1, v7, v13, vcc
	v_cmp_ne_u32_e32 vcc, 0, v1
	v_cndmask_b32_e64 v1, v14, v12, s[2:3]
	s_nop 0
	v_cndmask_b32_e32 v11, v11, v3, vcc
	v_cndmask_b32_e32 v10, v10, v1, vcc
.LBB0_4:                                ;   in Loop: Header=BB0_2 Depth=1
	s_andn2_saveexec_b64 s[2:3], s[20:21]
	s_cbranch_execz .LBB0_6
; %bb.5:                                ;   in Loop: Header=BB0_2 Depth=1
	v_cvt_f32_u32_e32 v1, s18
	s_sub_i32 s20, 0, s18
	v_mov_b32_e32 v11, v6
	v_rcp_iflag_f32_e32 v1, v1
	s_nop 0
	v_mul_f32_e32 v1, 0x4f7ffffe, v1
	v_cvt_u32_f32_e32 v1, v1
	v_mul_lo_u32 v3, s20, v1
	v_mul_hi_u32 v3, v1, v3
	v_add_u32_e32 v1, v1, v3
	v_mul_hi_u32 v1, v8, v1
	v_mul_lo_u32 v3, v1, s18
	v_sub_u32_e32 v3, v8, v3
	v_add_u32_e32 v7, 1, v1
	v_subrev_u32_e32 v10, s18, v3
	v_cmp_le_u32_e32 vcc, s18, v3
	s_nop 1
	v_cndmask_b32_e32 v3, v3, v10, vcc
	v_cndmask_b32_e32 v1, v1, v7, vcc
	v_add_u32_e32 v7, 1, v1
	v_cmp_le_u32_e32 vcc, s18, v3
	s_nop 1
	v_cndmask_b32_e32 v10, v1, v7, vcc
.LBB0_6:                                ;   in Loop: Header=BB0_2 Depth=1
	s_or_b64 exec, exec, s[2:3]
	v_mad_u64_u32 v[12:13], s[2:3], v10, s18, 0
	s_load_dwordx2 s[2:3], s[12:13], 0x0
	s_add_u32 s14, s14, 1
	v_mul_lo_u32 v1, v11, s18
	v_mul_lo_u32 v3, v10, s19
	s_addc_u32 s15, s15, 0
	v_add3_u32 v1, v13, v3, v1
	v_sub_co_u32_e32 v3, vcc, v8, v12
	s_add_u32 s12, s12, 8
	s_nop 0
	v_subb_co_u32_e32 v1, vcc, v9, v1, vcc
	s_addc_u32 s13, s13, 0
	v_mov_b64_e32 v[8:9], s[6:7]
	s_waitcnt lgkmcnt(0)
	v_mul_lo_u32 v1, s2, v1
	v_mul_lo_u32 v7, s3, v3
	v_mad_u64_u32 v[4:5], s[2:3], s2, v3, v[4:5]
	s_add_u32 s16, s16, 8
	v_cmp_ge_u64_e32 vcc, s[14:15], v[8:9]
	v_add3_u32 v5, v7, v5, v1
	s_addc_u32 s17, s17, 0
	s_cbranch_vccnz .LBB0_8
; %bb.7:                                ;   in Loop: Header=BB0_2 Depth=1
	v_mov_b64_e32 v[8:9], v[10:11]
	s_branch .LBB0_2
.LBB0_8:
	s_lshl_b64 s[2:3], s[6:7], 3
	s_add_u32 s2, s10, s2
	s_addc_u32 s3, s11, s3
	s_load_dwordx2 s[6:7], s[2:3], 0x0
	s_load_dwordx2 s[10:11], s[0:1], 0x20
	s_waitcnt lgkmcnt(0)
	v_mad_u64_u32 v[4:5], s[0:1], s6, v10, v[4:5]
	v_mul_lo_u32 v1, s6, v11
	v_mul_lo_u32 v3, s7, v10
	s_mov_b32 s0, 0xaaaaaaab
	v_add3_u32 v5, v3, v5, v1
	v_mul_hi_u32 v1, v2, s0
	v_lshrrev_b32_e32 v1, 1, v1
	v_lshl_add_u32 v1, v1, 1, v1
	s_mov_b32 s0, 0x3531ded
	v_sub_u32_e32 v1, v2, v1
	v_mul_hi_u32 v2, v0, s0
	v_mul_u32_u24_e32 v2, 0x4d, v2
	v_mul_u32_u24_e32 v1, 0x1ce, v1
	v_sub_u32_e32 v20, v0, v2
	v_cmp_gt_u64_e32 vcc, s[10:11], v[10:11]
	v_lshl_add_u64 v[22:23], v[4:5], 3, s[8:9]
	v_lshlrev_b32_e32 v79, 3, v1
	v_lshlrev_b32_e32 v4, 3, v20
	s_and_saveexec_b64 s[0:1], vcc
	s_cbranch_execz .LBB0_10
; %bb.9:
	v_mov_b32_e32 v21, 0
	v_lshl_add_u64 v[0:1], v[20:21], 3, v[22:23]
	global_load_dwordx2 v[2:3], v[0:1], off
	global_load_dwordx2 v[6:7], v[0:1], off offset:616
	global_load_dwordx2 v[8:9], v[0:1], off offset:1232
	global_load_dwordx2 v[10:11], v[0:1], off offset:1848
	global_load_dwordx2 v[12:13], v[0:1], off offset:2464
	global_load_dwordx2 v[14:15], v[0:1], off offset:3080
	v_add3_u32 v0, 0, v79, v4
	v_add_u32_e32 v1, 0x800, v0
	s_waitcnt vmcnt(4)
	ds_write2_b64 v0, v[2:3], v[6:7] offset1:77
	s_waitcnt vmcnt(2)
	ds_write2_b64 v0, v[8:9], v[10:11] offset0:154 offset1:231
	s_waitcnt vmcnt(0)
	ds_write2_b64 v1, v[12:13], v[14:15] offset0:52 offset1:129
.LBB0_10:
	s_or_b64 exec, exec, s[0:1]
	v_add_u32_e32 v80, 0, v4
	v_add_u32_e32 v21, v80, v79
	;; [unrolled: 1-line block ×3, first 2 shown]
	s_waitcnt lgkmcnt(0)
	s_barrier
	ds_read2_b64 v[8:11], v21 offset0:42 offset1:84
	ds_read2_b64 v[0:3], v5 offset0:122 offset1:164
	v_add3_u32 v78, 0, v79, v4
	s_mov_b32 s6, 0xbf75a155
	ds_read2_b64 v[12:15], v21 offset0:126 offset1:168
	ds_read2_b64 v[4:7], v5 offset0:38 offset1:80
	ds_read_b64 v[26:27], v78
	s_waitcnt lgkmcnt(3)
	v_pk_add_f32 v[50:51], v[2:3], v[8:9]
	v_pk_add_f32 v[52:53], v[8:9], v[2:3] neg_lo:[0,1] neg_hi:[0,1]
	s_mov_b32 s7, 0xbe903f40
	s_mov_b32 s8, 0x3f575c64
	v_pk_add_f32 v[40:41], v[0:1], v[10:11]
	v_pk_add_f32 v[46:47], v[10:11], v[0:1] neg_lo:[0,1] neg_hi:[0,1]
	v_mov_b32_e32 v16, v53
	v_mov_b32_e32 v17, v51
	s_mov_b32 s0, s7
	s_mov_b32 s1, s6
	;; [unrolled: 1-line block ×3, first 2 shown]
	v_pk_mul_f32 v[30:31], v[16:17], s[0:1]
	v_mov_b32_e32 v34, v50
	v_mov_b32_e32 v35, v52
	;; [unrolled: 1-line block ×4, first 2 shown]
	s_mov_b32 s0, s9
	s_mov_b32 s1, s8
	v_pk_fma_f32 v[16:17], v[34:35], s[6:7], v[30:31] neg_lo:[0,0,1] neg_hi:[0,0,1]
	v_pk_fma_f32 v[28:29], v[34:35], s[6:7], v[30:31]
	v_pk_mul_f32 v[42:43], v[18:19], s[0:1]
	v_mov_b32_e32 v48, v40
	v_mov_b32_e32 v49, v46
	;; [unrolled: 1-line block ×3, first 2 shown]
	v_pk_fma_f32 v[18:19], v[48:49], s[8:9], v[42:43] neg_lo:[0,0,1] neg_hi:[0,0,1]
	v_pk_fma_f32 v[44:45], v[48:49], s[8:9], v[42:43]
	s_mov_b32 s10, 0xbf27a4f4
	s_waitcnt lgkmcnt(1)
	v_pk_add_f32 v[36:37], v[6:7], v[12:13]
	v_pk_add_f32 v[38:39], v[12:13], v[6:7] neg_lo:[0,1] neg_hi:[0,1]
	s_waitcnt lgkmcnt(0)
	v_pk_add_f32 v[16:17], v[26:27], v[16:17]
	v_mov_b32_e32 v19, v45
	s_mov_b32 s11, 0xbf4178ce
	v_pk_add_f32 v[16:17], v[18:19], v[16:17]
	v_mov_b32_e32 v18, v39
	v_mov_b32_e32 v19, v37
	s_mov_b32 s0, s11
	s_mov_b32 s1, s10
	v_pk_mul_f32 v[54:55], v[18:19], s[0:1]
	v_mov_b32_e32 v56, v36
	v_mov_b32_e32 v57, v38
	v_pk_fma_f32 v[18:19], v[56:57], s[10:11], v[54:55] neg_lo:[0,0,1] neg_hi:[0,0,1]
	v_pk_fma_f32 v[58:59], v[56:57], s[10:11], v[54:55]
	s_mov_b32 s12, 0x3ed4b147
	v_pk_add_f32 v[32:33], v[4:5], v[14:15]
	v_mov_b32_e32 v19, v59
	v_pk_add_f32 v[72:73], v[14:15], v[4:5] neg_lo:[0,1] neg_hi:[0,1]
	s_mov_b32 s13, 0x3f68dda4
	v_pk_add_f32 v[24:25], v[18:19], v[16:17]
	v_mov_b32_e32 v16, v73
	v_mov_b32_e32 v17, v33
	s_mov_b32 s0, s13
	s_mov_b32 s1, s12
	v_pk_mul_f32 v[60:61], v[16:17], s[0:1]
	ds_read2_b64 v[16:19], v21 offset0:210 offset1:252
	v_mov_b32_e32 v62, v32
	v_mov_b32_e32 v63, v72
	v_pk_fma_f32 v[66:67], v[62:63], s[12:13], v[60:61] neg_lo:[0,0,1] neg_hi:[0,0,1]
	v_pk_fma_f32 v[64:65], v[62:63], s[12:13], v[60:61]
	s_mov_b32 s14, 0xbe11bafb
	v_mov_b32_e32 v67, v65
	s_waitcnt lgkmcnt(0)
	v_pk_add_f32 v[74:75], v[18:19], v[16:17]
	v_pk_add_f32 v[76:77], v[16:17], v[18:19] neg_lo:[0,1] neg_hi:[0,1]
	s_mov_b32 s15, 0xbf7d64f0
	v_pk_add_f32 v[24:25], v[66:67], v[24:25]
	v_mov_b32_e32 v66, v77
	v_mov_b32_e32 v67, v75
	s_mov_b32 s0, s15
	s_mov_b32 s1, s14
	v_pk_mul_f32 v[66:67], v[66:67], s[0:1]
	v_mov_b32_e32 v68, v74
	v_mov_b32_e32 v69, v76
	v_pk_fma_f32 v[82:83], v[68:69], s[14:15], v[66:67] neg_lo:[0,0,1] neg_hi:[0,0,1]
	v_pk_fma_f32 v[70:71], v[68:69], s[14:15], v[66:67]
	v_cmp_gt_u32_e64 s[0:1], 42, v20
	v_mov_b32_e32 v83, v71
	v_pk_add_f32 v[24:25], v[82:83], v[24:25]
	s_barrier
	s_and_saveexec_b64 s[2:3], s[0:1]
	s_cbranch_execz .LBB0_12
; %bb.11:
	v_pk_add_f32 v[8:9], v[26:27], v[8:9]
	s_mov_b32 s0, 0xbf0a6770
	v_pk_add_f32 v[8:9], v[8:9], v[10:11]
	s_mov_b32 s18, 0xbf68dda4
	;; [unrolled: 2-line block ×6, first 2 shown]
	v_pk_add_f32 v[4:5], v[8:9], v[4:5]
	v_pk_mul_f32 v[8:9], v[46:47], s[18:19] op_sel_hi:[1,0]
	v_pk_add_f32 v[4:5], v[4:5], v[6:7]
	v_pk_mul_f32 v[6:7], v[52:53], s[0:1] op_sel_hi:[1,0]
	v_pk_add_f32 v[0:1], v[4:5], v[0:1]
	v_pk_fma_f32 v[4:5], v[50:51], s[8:9], v[6:7] op_sel:[0,0,1] op_sel_hi:[1,0,0] neg_lo:[0,0,1] neg_hi:[0,0,1]
	v_pk_add_f32 v[0:1], v[0:1], v[2:3]
	v_pk_fma_f32 v[2:3], v[50:51], s[8:9], v[6:7] op_sel:[0,0,1] op_sel_hi:[1,0,0]
	v_mov_b32_e32 v7, v5
	v_mov_b32_e32 v6, v2
	v_pk_fma_f32 v[10:11], v[40:41], s[12:13], v[8:9] op_sel:[0,0,1] op_sel_hi:[1,0,0]
	v_pk_fma_f32 v[8:9], v[40:41], s[12:13], v[8:9] op_sel:[0,0,1] op_sel_hi:[1,0,0] neg_lo:[0,0,1] neg_hi:[0,0,1]
	v_pk_add_f32 v[6:7], v[26:27], v[6:7]
	v_mov_b32_e32 v12, v10
	v_mov_b32_e32 v13, v9
	v_pk_add_f32 v[6:7], v[12:13], v[6:7]
	v_pk_mul_f32 v[12:13], v[38:39], s[20:21] op_sel_hi:[1,0]
	v_mul_u32_u24_e32 v2, 0x50, v20
	v_pk_fma_f32 v[14:15], v[36:37], s[14:15], v[12:13] op_sel:[0,0,1] op_sel_hi:[1,0,0]
	v_pk_fma_f32 v[12:13], v[36:37], s[14:15], v[12:13] op_sel:[0,0,1] op_sel_hi:[1,0,0] neg_lo:[0,0,1] neg_hi:[0,0,1]
	v_mov_b32_e32 v16, v14
	v_mov_b32_e32 v17, v13
	v_pk_add_f32 v[6:7], v[16:17], v[6:7]
	v_pk_mul_f32 v[16:17], v[72:73], s[22:23] op_sel_hi:[1,0]
	v_add3_u32 v2, v80, v2, v79
	v_pk_fma_f32 v[18:19], v[32:33], s[10:11], v[16:17] op_sel:[0,0,1] op_sel_hi:[1,0,0]
	v_pk_fma_f32 v[16:17], v[32:33], s[10:11], v[16:17] op_sel:[0,0,1] op_sel_hi:[1,0,0] neg_lo:[0,0,1] neg_hi:[0,0,1]
	v_mov_b32_e32 v82, v18
	v_mov_b32_e32 v83, v17
	v_pk_add_f32 v[6:7], v[82:83], v[6:7]
	v_pk_mul_f32 v[82:83], v[76:77], s[16:17] op_sel_hi:[1,0]
	s_mov_b32 s26, s9
	v_pk_fma_f32 v[84:85], v[74:75], s[6:7], v[82:83] op_sel:[0,0,1] op_sel_hi:[1,0,0]
	v_pk_fma_f32 v[82:83], v[74:75], s[6:7], v[82:83] op_sel:[0,0,1] op_sel_hi:[1,0,0] neg_lo:[0,0,1] neg_hi:[0,0,1]
	v_mov_b32_e32 v86, v84
	v_mov_b32_e32 v87, v83
	v_pk_add_f32 v[6:7], v[86:87], v[6:7]
	ds_write2_b64 v2, v[0:1], v[6:7] offset1:1
	v_pk_mul_f32 v[0:1], v[52:53], s[18:19] op_sel_hi:[1,0]
	v_pk_mul_f32 v[86:87], v[46:47], s[22:23] op_sel_hi:[1,0]
	v_pk_fma_f32 v[6:7], v[50:51], s[12:13], v[0:1] op_sel:[0,0,1] op_sel_hi:[1,0,0]
	v_pk_fma_f32 v[0:1], v[50:51], s[12:13], v[0:1] op_sel:[0,0,1] op_sel_hi:[1,0,0] neg_lo:[0,0,1] neg_hi:[0,0,1]
	v_mov_b32_e32 v80, v6
	v_mov_b32_e32 v81, v1
	v_pk_fma_f32 v[88:89], v[40:41], s[10:11], v[86:87] op_sel:[0,0,1] op_sel_hi:[1,0,0]
	v_pk_fma_f32 v[86:87], v[40:41], s[10:11], v[86:87] op_sel:[0,0,1] op_sel_hi:[1,0,0] neg_lo:[0,0,1] neg_hi:[0,0,1]
	v_pk_add_f32 v[80:81], v[26:27], v[80:81]
	v_mov_b32_e32 v90, v88
	v_mov_b32_e32 v91, v87
	s_mov_b32 s18, 0x3e903f40
	v_pk_add_f32 v[80:81], v[90:91], v[80:81]
	v_pk_mul_f32 v[90:91], v[38:39], s[18:19] op_sel_hi:[1,0]
	v_pk_mul_f32 v[108:109], v[46:47], s[18:19] op_sel_hi:[1,0]
	v_pk_fma_f32 v[92:93], v[36:37], s[6:7], v[90:91] op_sel:[0,0,1] op_sel_hi:[1,0,0]
	v_pk_fma_f32 v[90:91], v[36:37], s[6:7], v[90:91] op_sel:[0,0,1] op_sel_hi:[1,0,0] neg_lo:[0,0,1] neg_hi:[0,0,1]
	v_mov_b32_e32 v94, v92
	v_mov_b32_e32 v95, v91
	v_pk_add_f32 v[80:81], v[94:95], v[80:81]
	v_pk_mul_f32 v[94:95], v[72:73], s[24:25] op_sel_hi:[1,0]
	v_pk_fma_f32 v[110:111], v[40:41], s[6:7], v[108:109] op_sel:[0,0,1] op_sel_hi:[1,0,0]
	v_pk_fma_f32 v[96:97], v[32:33], s[14:15], v[94:95] op_sel:[0,0,1] op_sel_hi:[1,0,0]
	v_pk_fma_f32 v[94:95], v[32:33], s[14:15], v[94:95] op_sel:[0,0,1] op_sel_hi:[1,0,0] neg_lo:[0,0,1] neg_hi:[0,0,1]
	v_mov_b32_e32 v98, v96
	v_mov_b32_e32 v99, v95
	v_pk_add_f32 v[80:81], v[98:99], v[80:81]
	v_pk_mul_f32 v[98:99], v[76:77], s[26:27] op_sel_hi:[1,0]
	v_pk_fma_f32 v[108:109], v[40:41], s[6:7], v[108:109] op_sel:[0,0,1] op_sel_hi:[1,0,0] neg_lo:[0,0,1] neg_hi:[0,0,1]
	v_pk_fma_f32 v[100:101], v[74:75], s[8:9], v[98:99] op_sel:[0,0,1] op_sel_hi:[1,0,0]
	v_pk_fma_f32 v[98:99], v[74:75], s[8:9], v[98:99] op_sel:[0,0,1] op_sel_hi:[1,0,0] neg_lo:[0,0,1] neg_hi:[0,0,1]
	v_mov_b32_e32 v102, v100
	v_mov_b32_e32 v103, v99
	v_pk_add_f32 v[80:81], v[102:103], v[80:81]
	v_pk_mul_f32 v[102:103], v[52:53], s[20:21] op_sel_hi:[1,0]
	v_mov_b32_e32 v112, v110
	v_pk_fma_f32 v[104:105], v[50:51], s[14:15], v[102:103] op_sel:[0,0,1] op_sel_hi:[1,0,0]
	v_pk_fma_f32 v[102:103], v[50:51], s[14:15], v[102:103] op_sel:[0,0,1] op_sel_hi:[1,0,0] neg_lo:[0,0,1] neg_hi:[0,0,1]
	v_mov_b32_e32 v106, v104
	v_mov_b32_e32 v107, v103
	v_pk_add_f32 v[106:107], v[26:27], v[106:107]
	v_mov_b32_e32 v113, v109
	s_mov_b32 s18, s13
	v_pk_add_f32 v[106:107], v[112:113], v[106:107]
	v_pk_mul_f32 v[112:113], v[38:39], s[18:19] op_sel_hi:[1,0]
	v_pk_mul_f32 v[52:53], v[52:53], s[22:23] op_sel_hi:[1,0]
	v_pk_fma_f32 v[114:115], v[36:37], s[12:13], v[112:113] op_sel:[0,0,1] op_sel_hi:[1,0,0]
	v_pk_fma_f32 v[112:113], v[36:37], s[12:13], v[112:113] op_sel:[0,0,1] op_sel_hi:[1,0,0] neg_lo:[0,0,1] neg_hi:[0,0,1]
	v_mov_b32_e32 v116, v114
	v_mov_b32_e32 v117, v113
	v_pk_add_f32 v[106:107], v[116:117], v[106:107]
	v_pk_mul_f32 v[116:117], v[72:73], s[0:1] op_sel_hi:[1,0]
	v_pk_mul_f32 v[46:47], v[46:47], s[24:25] op_sel_hi:[1,0]
	v_pk_fma_f32 v[118:119], v[32:33], s[8:9], v[116:117] op_sel:[0,0,1] op_sel_hi:[1,0,0]
	v_pk_fma_f32 v[116:117], v[32:33], s[8:9], v[116:117] op_sel:[0,0,1] op_sel_hi:[1,0,0] neg_lo:[0,0,1] neg_hi:[0,0,1]
	v_mov_b32_e32 v120, v118
	v_mov_b32_e32 v121, v117
	v_pk_add_f32 v[106:107], v[120:121], v[106:107]
	v_pk_mul_f32 v[120:121], v[76:77], s[22:23] op_sel_hi:[1,0]
	v_pk_mul_f32 v[34:35], v[34:35], s[6:7]
	v_pk_fma_f32 v[122:123], v[74:75], s[10:11], v[120:121] op_sel:[0,0,1] op_sel_hi:[1,0,0]
	v_pk_fma_f32 v[120:121], v[74:75], s[10:11], v[120:121] op_sel:[0,0,1] op_sel_hi:[1,0,0] neg_lo:[0,0,1] neg_hi:[0,0,1]
	v_mov_b32_e32 v124, v122
	v_mov_b32_e32 v125, v121
	v_pk_add_f32 v[106:107], v[124:125], v[106:107]
	ds_write2_b64 v2, v[80:81], v[106:107] offset0:2 offset1:3
	v_pk_fma_f32 v[80:81], v[50:51], s[10:11], v[52:53] op_sel:[0,0,1] op_sel_hi:[1,0,0]
	v_pk_fma_f32 v[50:51], v[50:51], s[10:11], v[52:53] op_sel:[0,0,1] op_sel_hi:[1,0,0] neg_lo:[0,0,1] neg_hi:[0,0,1]
	v_pk_fma_f32 v[52:53], v[40:41], s[14:15], v[46:47] op_sel:[0,0,1] op_sel_hi:[1,0,0]
	v_pk_fma_f32 v[40:41], v[40:41], s[14:15], v[46:47] op_sel:[0,0,1] op_sel_hi:[1,0,0] neg_lo:[0,0,1] neg_hi:[0,0,1]
	v_mov_b32_e32 v46, v80
	v_mov_b32_e32 v47, v51
	v_pk_add_f32 v[30:31], v[30:31], v[34:35] neg_lo:[0,1] neg_hi:[0,1]
	v_pk_add_f32 v[46:47], v[26:27], v[46:47]
	v_mov_b32_e32 v106, v52
	v_mov_b32_e32 v107, v41
	v_pk_mul_f32 v[38:39], v[38:39], s[0:1] op_sel_hi:[1,0]
	v_mov_b32_e32 v29, v31
	v_pk_mul_f32 v[30:31], v[48:49], s[8:9]
	v_pk_add_f32 v[46:47], v[106:107], v[46:47]
	v_pk_fma_f32 v[106:107], v[36:37], s[8:9], v[38:39] op_sel:[0,0,1] op_sel_hi:[1,0,0]
	v_pk_fma_f32 v[36:37], v[36:37], s[8:9], v[38:39] op_sel:[0,0,1] op_sel_hi:[1,0,0] neg_lo:[0,0,1] neg_hi:[0,0,1]
	v_pk_add_f32 v[30:31], v[42:43], v[30:31] neg_lo:[0,1] neg_hi:[0,1]
	v_mov_b32_e32 v38, v106
	v_mov_b32_e32 v39, v37
	;; [unrolled: 1-line block ×3, first 2 shown]
	v_pk_mul_f32 v[30:31], v[56:57], s[10:11]
	v_pk_add_f32 v[38:39], v[38:39], v[46:47]
	v_pk_mul_f32 v[46:47], v[72:73], s[16:17] op_sel_hi:[1,0]
	v_pk_add_f32 v[30:31], v[54:55], v[30:31] neg_lo:[0,1] neg_hi:[0,1]
	v_pk_fma_f32 v[72:73], v[32:33], s[6:7], v[46:47] op_sel:[0,0,1] op_sel_hi:[1,0,0]
	v_pk_fma_f32 v[32:33], v[32:33], s[6:7], v[46:47] op_sel:[0,0,1] op_sel_hi:[1,0,0] neg_lo:[0,0,1] neg_hi:[0,0,1]
	v_mov_b32_e32 v59, v31
	v_pk_mul_f32 v[30:31], v[62:63], s[12:13]
	v_mov_b32_e32 v46, v72
	v_mov_b32_e32 v47, v33
	v_pk_add_f32 v[28:29], v[26:27], v[28:29]
	v_pk_add_f32 v[30:31], v[60:61], v[30:31] neg_lo:[0,1] neg_hi:[0,1]
	v_pk_add_f32 v[38:39], v[46:47], v[38:39]
	v_pk_mul_f32 v[46:47], v[76:77], s[18:19] op_sel_hi:[1,0]
	v_pk_add_f32 v[28:29], v[44:45], v[28:29]
	v_mov_b32_e32 v65, v31
	v_pk_mul_f32 v[30:31], v[68:69], s[14:15]
	v_pk_fma_f32 v[76:77], v[74:75], s[12:13], v[46:47] op_sel:[0,0,1] op_sel_hi:[1,0,0]
	v_pk_fma_f32 v[46:47], v[74:75], s[12:13], v[46:47] op_sel:[0,0,1] op_sel_hi:[1,0,0] neg_lo:[0,0,1] neg_hi:[0,0,1]
	v_pk_add_f32 v[28:29], v[58:59], v[28:29]
	v_pk_add_f32 v[30:31], v[66:67], v[30:31] neg_lo:[0,1] neg_hi:[0,1]
	v_mov_b32_e32 v74, v76
	v_mov_b32_e32 v75, v47
	v_pk_add_f32 v[28:29], v[64:65], v[28:29]
	v_mov_b32_e32 v71, v31
	v_pk_add_f32 v[38:39], v[74:75], v[38:39]
	v_pk_add_f32 v[28:29], v[70:71], v[28:29]
	v_mov_b32_e32 v51, v81
	ds_write2_b64 v2, v[38:39], v[28:29] offset0:4 offset1:5
	v_mov_b32_e32 v41, v53
	v_pk_add_f32 v[28:29], v[26:27], v[50:51]
	v_mov_b32_e32 v37, v107
	v_pk_add_f32 v[28:29], v[40:41], v[28:29]
	;; [unrolled: 2-line block ×5, first 2 shown]
	v_mov_b32_e32 v1, v7
	ds_write2_b64 v2, v[24:25], v[28:29] offset0:6 offset1:7
	v_pk_add_f32 v[28:29], v[26:27], v[102:103]
	v_mov_b32_e32 v109, v111
	v_pk_add_f32 v[0:1], v[26:27], v[0:1]
	v_mov_b32_e32 v87, v89
	;; [unrolled: 2-line block ×8, first 2 shown]
	v_pk_add_f32 v[28:29], v[120:121], v[28:29]
	v_pk_add_f32 v[0:1], v[98:99], v[0:1]
	v_mov_b32_e32 v5, v3
	ds_write2_b64 v2, v[28:29], v[0:1] offset0:8 offset1:9
	v_pk_add_f32 v[0:1], v[26:27], v[4:5]
	v_mov_b32_e32 v9, v11
	v_pk_add_f32 v[0:1], v[8:9], v[0:1]
	v_mov_b32_e32 v13, v15
	;; [unrolled: 2-line block ×4, first 2 shown]
	v_pk_add_f32 v[0:1], v[82:83], v[0:1]
	ds_write_b64 v2, v[0:1] offset:80
.LBB0_12:
	s_or_b64 exec, exec, s[2:3]
	s_movk_i32 s0, 0x75
	v_mul_lo_u16_sdwa v0, v20, s0 dst_sel:DWORD dst_unused:UNUSED_PAD src0_sel:BYTE_0 src1_sel:DWORD
	v_sub_u16_sdwa v1, v20, v0 dst_sel:DWORD dst_unused:UNUSED_PAD src0_sel:DWORD src1_sel:BYTE_1
	v_lshrrev_b16_e32 v1, 1, v1
	v_and_b32_e32 v1, 0x7f, v1
	v_add_u16_sdwa v0, v1, v0 dst_sel:DWORD dst_unused:UNUSED_PAD src0_sel:DWORD src1_sel:BYTE_1
	v_lshrrev_b16_e32 v5, 3, v0
	v_mul_lo_u16_e32 v0, 11, v5
	v_sub_u16_e32 v30, v20, v0
	v_mov_b32_e32 v0, 5
	v_mul_u32_u24_sdwa v0, v30, v0 dst_sel:DWORD dst_unused:UNUSED_PAD src0_sel:BYTE_0 src1_sel:DWORD
	v_lshlrev_b32_e32 v4, 3, v0
	s_waitcnt lgkmcnt(0)
	s_barrier
	global_load_dwordx4 v[0:3], v4, s[4:5]
	global_load_dwordx4 v[6:9], v4, s[4:5] offset:16
	global_load_dwordx2 v[18:19], v4, s[4:5] offset:32
	v_add_u32_e32 v4, 0x400, v21
	ds_read2_b64 v[10:13], v21 offset0:77 offset1:154
	ds_read_b64 v[26:27], v21 offset:3080
	ds_read_b64 v[28:29], v78
	ds_read2_b64 v[14:17], v4 offset0:103 offset1:180
	s_movk_i32 s8, 0x210
	v_mov_b32_e32 v31, 3
	v_mad_u32_u24 v5, v5, s8, 0
	v_lshlrev_b32_sdwa v30, v31, v30 dst_sel:DWORD dst_unused:UNUSED_PAD src0_sel:DWORD src1_sel:BYTE_0
	v_add3_u32 v5, v5, v30, v79
	s_mov_b32 s0, 0x3f5db3d7
	s_mov_b32 s1, 0.5
	s_mov_b32 s2, -0.5
	s_mov_b32 s3, s0
	s_mov_b32 s6, s1
	;; [unrolled: 1-line block ×3, first 2 shown]
	s_waitcnt lgkmcnt(0)
	s_barrier
	s_waitcnt vmcnt(2)
	v_pk_mul_f32 v[30:31], v[0:1], v[10:11] op_sel:[0,1]
	v_pk_mul_f32 v[32:33], v[2:3], v[12:13] op_sel:[0,1]
	s_waitcnt vmcnt(1)
	v_pk_mul_f32 v[34:35], v[6:7], v[14:15] op_sel:[0,1]
	v_pk_mul_f32 v[36:37], v[8:9], v[16:17] op_sel:[0,1]
	s_waitcnt vmcnt(0)
	v_pk_mul_f32 v[38:39], v[18:19], v[26:27] op_sel:[0,1]
	v_pk_fma_f32 v[40:41], v[0:1], v[10:11], v[30:31] op_sel:[0,0,1] op_sel_hi:[1,1,0]
	v_pk_fma_f32 v[0:1], v[0:1], v[10:11], v[30:31] op_sel:[0,0,1] op_sel_hi:[1,0,0] neg_lo:[1,0,0] neg_hi:[1,0,0]
	v_pk_fma_f32 v[10:11], v[2:3], v[12:13], v[32:33] op_sel:[0,0,1] op_sel_hi:[1,1,0]
	v_pk_fma_f32 v[2:3], v[2:3], v[12:13], v[32:33] op_sel:[0,0,1] op_sel_hi:[1,0,0] neg_lo:[1,0,0] neg_hi:[1,0,0]
	;; [unrolled: 2-line block ×5, first 2 shown]
	v_mov_b32_e32 v13, v7
	v_mov_b32_e32 v17, v19
	;; [unrolled: 1-line block ×5, first 2 shown]
	v_pk_add_f32 v[6:7], v[12:13], v[16:17]
	v_pk_add_f32 v[8:9], v[12:13], v[16:17] neg_lo:[0,1] neg_hi:[0,1]
	v_pk_add_f32 v[0:1], v[28:29], v[10:11]
	v_pk_add_f32 v[2:3], v[40:41], v[12:13]
	;; [unrolled: 1-line block ×3, first 2 shown]
	v_pk_fma_f32 v[6:7], v[6:7], 0.5, v[40:41] op_sel_hi:[1,0,1] neg_lo:[1,0,0] neg_hi:[1,0,0]
	v_pk_mul_f32 v[8:9], v[8:9], s[0:1] op_sel_hi:[1,0]
	v_pk_add_f32 v[10:11], v[10:11], v[14:15] neg_lo:[0,1] neg_hi:[0,1]
	v_pk_add_f32 v[0:1], v[0:1], v[14:15]
	v_pk_add_f32 v[2:3], v[2:3], v[16:17]
	v_pk_fma_f32 v[14:15], v[12:13], 0.5, v[28:29] op_sel_hi:[1,0,1] neg_lo:[1,0,0] neg_hi:[1,0,0]
	v_pk_add_f32 v[18:19], v[6:7], v[8:9] op_sel:[0,1] op_sel_hi:[1,0] neg_lo:[0,1] neg_hi:[0,1]
	v_pk_add_f32 v[6:7], v[8:9], v[6:7] op_sel:[1,0] op_sel_hi:[0,1]
	v_pk_mul_f32 v[16:17], v[10:11], s[0:1] op_sel_hi:[1,0]
	v_pk_add_f32 v[12:13], v[0:1], v[2:3]
	v_pk_add_f32 v[0:1], v[0:1], v[2:3] neg_lo:[0,1] neg_hi:[0,1]
	v_pk_fma_f32 v[8:9], v[10:11], s[0:1], v[14:15] op_sel:[0,0,1] op_sel_hi:[1,0,0]
	v_pk_fma_f32 v[10:11], v[10:11], s[0:1], v[14:15] op_sel:[0,0,1] op_sel_hi:[1,0,0] neg_lo:[1,0,0] neg_hi:[1,0,0]
	v_mov_b32_e32 v14, v6
	v_pk_mul_f32 v[26:27], v[18:19], s[2:3]
	v_mul_f32_e32 v3, 0x3f5db3d7, v6
	v_pk_mul_f32 v[6:7], v[6:7], s[6:7] op_sel:[1,0]
	v_mov_b32_e32 v2, v15
	v_mov_b32_e32 v15, v19
	v_mul_f32_e32 v17, 0.5, v19
	v_mov_b32_e32 v26, v27
	v_pk_fma_f32 v[28:29], v[18:19], s[0:1], v[6:7]
	v_pk_fma_f32 v[6:7], v[18:19], s[0:1], v[6:7] op_sel_hi:[0,1,1] neg_lo:[0,0,1] neg_hi:[0,0,1]
	v_mov_b32_e32 v10, v8
	v_pk_fma_f32 v[18:19], v[14:15], s[2:3], v[26:27] neg_lo:[0,0,1] neg_hi:[0,0,1]
	v_pk_add_f32 v[16:17], v[2:3], v[16:17] neg_lo:[0,1] neg_hi:[0,1]
	v_mov_b32_e32 v29, v7
	v_mov_b32_e32 v8, v9
	v_pk_add_f32 v[2:3], v[10:11], v[28:29]
	v_mov_b32_e32 v9, v16
	v_mov_b32_e32 v19, v17
	s_movk_i32 s0, 0x42
	v_pk_add_f32 v[14:15], v[10:11], v[28:29] neg_lo:[0,1] neg_hi:[0,1]
	v_mov_b32_e32 v10, v3
	v_mov_b32_e32 v11, v2
	v_pk_add_f32 v[6:7], v[8:9], v[18:19]
	v_pk_add_f32 v[8:9], v[8:9], v[18:19] neg_lo:[0,1] neg_hi:[0,1]
	v_cmp_gt_u32_e64 s[0:1], s0, v20
	v_mov_b32_e32 v16, v15
	v_mov_b32_e32 v17, v14
	ds_write2_b64 v5, v[12:13], v[10:11] offset1:11
	ds_write2_b64 v5, v[6:7], v[0:1] offset0:22 offset1:33
	ds_write2_b64 v5, v[16:17], v[8:9] offset0:44 offset1:55
	s_waitcnt lgkmcnt(0)
	s_barrier
	s_and_saveexec_b64 s[2:3], s[0:1]
	s_cbranch_execz .LBB0_14
; %bb.13:
	ds_read2_b64 v[0:3], v4 offset0:70 offset1:136
	v_add_u32_e32 v4, 0x800, v21
	ds_read2_b64 v[8:11], v4 offset0:74 offset1:140
	ds_read_b64 v[12:13], v78
	ds_read2_b64 v[4:7], v21 offset0:66 offset1:132
	s_waitcnt lgkmcnt(2)
	v_mov_b32_e32 v25, v11
	v_mov_b32_e32 v14, v3
	;; [unrolled: 1-line block ×4, first 2 shown]
	s_waitcnt lgkmcnt(0)
	v_mov_b32_e32 v2, v5
	v_mov_b32_e32 v3, v4
.LBB0_14:
	s_or_b64 exec, exec, s[2:3]
	s_barrier
	s_and_saveexec_b64 s[2:3], s[0:1]
	s_cbranch_execz .LBB0_16
; %bb.15:
	v_add_u32_e32 v4, 0xffffffbe, v20
	v_cndmask_b32_e64 v4, v4, v20, s[0:1]
	v_mul_i32_i24_e32 v4, 6, v4
	v_mov_b32_e32 v5, 0
	v_lshl_add_u64 v[4:5], v[4:5], 3, s[4:5]
	global_load_dwordx4 v[16:19], v[4:5], off offset:440
	global_load_dwordx4 v[26:29], v[4:5], off offset:472
	;; [unrolled: 1-line block ×3, first 2 shown]
	v_mov_b32_e32 v4, v3
	v_mov_b32_e32 v10, v25
	;; [unrolled: 1-line block ×9, first 2 shown]
	s_mov_b32 s4, 0xbeae86e6
	s_mov_b32 s5, 0x3f08b237
	;; [unrolled: 1-line block ×9, first 2 shown]
	s_waitcnt vmcnt(2)
	v_pk_mul_f32 v[4:5], v[4:5], v[16:17] op_sel_hi:[0,1]
	s_waitcnt vmcnt(1)
	v_pk_mul_f32 v[24:25], v[24:25], v[28:29] op_sel_hi:[0,1]
	s_waitcnt vmcnt(0)
	v_mov_b32_e32 v48, v33
	v_pk_mul_f32 v[6:7], v[6:7], v[18:19] op_sel_hi:[0,1]
	v_pk_mul_f32 v[8:9], v[8:9], v[26:27] op_sel_hi:[0,1]
	v_pk_mul_f32 v[36:37], v[36:37], v[32:33]
	v_pk_mul_f32 v[50:51], v[0:1], v[30:31]
	v_pk_mul_f32 v[38:39], v[38:39], v[30:31] op_sel:[0,1] op_sel_hi:[1,0]
	v_pk_mul_f32 v[52:53], v[0:1], v[30:31] op_sel:[0,1] op_sel_hi:[1,0]
	v_pk_mul_f32 v[54:55], v[14:15], v[32:33]
	v_pk_mul_f32 v[48:49], v[14:15], v[48:49]
	v_pk_fma_f32 v[10:11], v[10:11], v[28:29], v[24:25] op_sel:[0,0,1] op_sel_hi:[1,1,0] neg_lo:[0,0,1] neg_hi:[0,0,1]
	v_pk_fma_f32 v[24:25], v[34:35], v[28:29], v[24:25] op_sel:[0,0,1] op_sel_hi:[0,1,0]
	v_pk_fma_f32 v[28:29], v[2:3], v[16:17], v[4:5] op_sel:[0,0,1] op_sel_hi:[1,1,0] neg_lo:[0,0,1] neg_hi:[0,0,1]
	v_pk_fma_f32 v[2:3], v[2:3], v[16:17], v[4:5] op_sel:[0,0,1] op_sel_hi:[0,1,0]
	;; [unrolled: 2-line block ×4, first 2 shown]
	v_mov_b32_e32 v52, v53
	v_mov_b32_e32 v54, v55
	;; [unrolled: 1-line block ×10, first 2 shown]
	v_pk_fma_f32 v[0:1], v[0:1], v[30:31], v[52:53] op_sel:[0,1,0] op_sel_hi:[1,0,1] neg_lo:[1,0,0] neg_hi:[1,0,0]
	v_pk_fma_f32 v[14:15], v[14:15], v[32:33], v[54:55] neg_lo:[0,0,1] neg_hi:[0,0,1]
	v_pk_add_f32 v[2:3], v[28:29], v[10:11]
	v_pk_add_f32 v[6:7], v[16:17], v[4:5]
	v_pk_add_f32 v[8:9], v[28:29], v[10:11] neg_lo:[0,1] neg_hi:[0,1]
	v_pk_add_f32 v[4:5], v[16:17], v[4:5] neg_lo:[0,1] neg_hi:[0,1]
	v_pk_add_f32 v[10:11], v[36:37], v[48:49]
	v_pk_add_f32 v[16:17], v[50:51], v[38:39]
	v_mov_b32_e32 v19, v0
	v_mov_b32_e32 v25, v14
	;; [unrolled: 1-line block ×6, first 2 shown]
	v_pk_add_f32 v[32:33], v[16:17], v[10:11]
	v_pk_add_f32 v[0:1], v[14:15], v[0:1] neg_lo:[0,1] neg_hi:[0,1]
	v_pk_add_f32 v[14:15], v[18:19], v[24:25]
	v_mov_b32_e32 v26, v8
	v_mov_b32_e32 v29, v5
	;; [unrolled: 1-line block ×5, first 2 shown]
	v_pk_add_f32 v[18:19], v[0:1], v[4:5]
	v_mov_b32_e32 v30, v0
	v_mov_b32_e32 v0, v4
	v_pk_add_f32 v[24:25], v[14:15], v[32:33]
	v_mov_b32_e32 v14, v3
	v_mov_b32_e32 v33, v17
	v_pk_add_f32 v[26:27], v[26:27], v[28:29] neg_lo:[0,1] neg_hi:[0,1]
	v_pk_add_f32 v[0:1], v[30:31], v[0:1] neg_lo:[0,1] neg_hi:[0,1]
	;; [unrolled: 1-line block ×3, first 2 shown]
	v_mov_b32_e32 v33, v11
	v_mov_b32_e32 v14, v7
	v_pk_mul_f32 v[0:1], v[0:1], s[8:9]
	v_pk_add_f32 v[14:15], v[32:33], v[14:15] neg_lo:[0,1] neg_hi:[0,1]
	v_pk_add_f32 v[12:13], v[12:13], v[24:25]
	v_pk_mul_f32 v[30:31], v[26:27], s[4:5]
	v_pk_mul_f32 v[34:35], v[28:29], s[6:7]
	v_pk_fma_f32 v[26:27], v[26:27], s[4:5], v[0:1]
	v_pk_mul_f32 v[14:15], v[14:15], s[10:11]
	s_mov_b32 s4, 0xbf955555
	v_mov_b32_e32 v16, v7
	v_mov_b32_e32 v10, v3
	v_pk_add_f32 v[18:19], v[18:19], v[8:9]
	v_pk_fma_f32 v[28:29], v[28:29], s[6:7], v[14:15]
	v_pk_fma_f32 v[24:25], v[24:25], s[4:5], v[12:13] op_sel_hi:[1,0,1]
	v_pk_add_f32 v[4:5], v[4:5], v[8:9] neg_lo:[0,1] neg_hi:[0,1]
	s_mov_b32 s4, 0xbf5ff5aa
	v_mov_b32_e32 v9, v1
	v_pk_add_f32 v[2:3], v[16:17], v[10:11] neg_lo:[0,1] neg_hi:[0,1]
	s_mov_b32 s6, 0x3f3bfb3b
	v_mov_b32_e32 v6, v34
	v_mov_b32_e32 v7, v15
	v_mov_b32_e32 v1, v31
	v_mov_b32_e32 v15, v35
	v_mov_b32_e32 v8, v30
	v_pk_fma_f32 v[6:7], v[2:3], s[6:7], v[6:7] op_sel_hi:[1,0,1] neg_lo:[1,0,1] neg_hi:[1,0,1]
	v_pk_fma_f32 v[0:1], v[4:5], s[4:5], v[0:1] op_sel_hi:[1,0,1] neg_lo:[0,0,1] neg_hi:[0,0,1]
	;; [unrolled: 1-line block ×4, first 2 shown]
	v_pk_fma_f32 v[0:1], v[18:19], s[0:1], v[0:1] op_sel_hi:[1,0,1]
	v_pk_add_f32 v[2:3], v[2:3], v[24:25]
	v_pk_fma_f32 v[26:27], v[18:19], s[0:1], v[26:27] op_sel_hi:[1,0,1]
	v_pk_add_f32 v[28:29], v[28:29], v[24:25]
	;; [unrolled: 2-line block ×3, first 2 shown]
	v_pk_add_f32 v[4:5], v[2:3], v[0:1] neg_lo:[0,1] neg_hi:[0,1]
	v_pk_add_f32 v[0:1], v[2:3], v[0:1]
	v_pk_add_f32 v[32:33], v[28:29], v[26:27]
	v_pk_add_f32 v[26:27], v[28:29], v[26:27] neg_lo:[0,1] neg_hi:[0,1]
	v_pk_add_f32 v[10:11], v[6:7], v[8:9]
	v_pk_add_f32 v[6:7], v[6:7], v[8:9] neg_lo:[0,1] neg_hi:[0,1]
	v_mov_b32_e32 v2, v4
	v_mov_b32_e32 v3, v1
	;; [unrolled: 1-line block ×3, first 2 shown]
	v_add_u32_e32 v4, 0x400, v21
	ds_write_b64 v78, v[12:13]
	v_mov_b32_e32 v12, v32
	v_mov_b32_e32 v13, v27
	;; [unrolled: 1-line block ×4, first 2 shown]
	ds_write2_b64 v4, v[2:3], v[0:1] offset0:70 offset1:136
	v_mov_b32_e32 v7, v11
	v_mov_b32_e32 v27, v33
	v_add_u32_e32 v0, 0x800, v21
	ds_write2_b64 v21, v[12:13], v[8:9] offset0:66 offset1:132
	ds_write2_b64 v0, v[6:7], v[26:27] offset0:74 offset1:140
.LBB0_16:
	s_or_b64 exec, exec, s[2:3]
	s_waitcnt lgkmcnt(0)
	s_barrier
	s_and_saveexec_b64 s[0:1], vcc
	s_cbranch_execz .LBB0_18
; %bb.17:
	ds_read2_b64 v[0:3], v78 offset1:77
	ds_read2_b64 v[4:7], v78 offset0:154 offset1:231
	v_mov_b32_e32 v21, 0
	v_add_u32_e32 v8, 0x800, v78
	v_lshl_add_u64 v[12:13], v[20:21], 3, v[22:23]
	ds_read2_b64 v[8:11], v8 offset0:52 offset1:129
	s_waitcnt lgkmcnt(2)
	global_store_dwordx2 v[12:13], v[0:1], off
	global_store_dwordx2 v[12:13], v[2:3], off offset:616
	s_waitcnt lgkmcnt(1)
	global_store_dwordx2 v[12:13], v[4:5], off offset:1232
	global_store_dwordx2 v[12:13], v[6:7], off offset:1848
	s_waitcnt lgkmcnt(0)
	global_store_dwordx2 v[12:13], v[8:9], off offset:2464
	global_store_dwordx2 v[12:13], v[10:11], off offset:3080
.LBB0_18:
	s_endpgm
	.section	.rodata,"a",@progbits
	.p2align	6, 0x0
	.amdhsa_kernel fft_rtc_back_len462_factors_11_6_7_wgs_231_tpt_77_sp_ip_CI_unitstride_sbrr_dirReg
		.amdhsa_group_segment_fixed_size 0
		.amdhsa_private_segment_fixed_size 0
		.amdhsa_kernarg_size 88
		.amdhsa_user_sgpr_count 2
		.amdhsa_user_sgpr_dispatch_ptr 0
		.amdhsa_user_sgpr_queue_ptr 0
		.amdhsa_user_sgpr_kernarg_segment_ptr 1
		.amdhsa_user_sgpr_dispatch_id 0
		.amdhsa_user_sgpr_kernarg_preload_length 0
		.amdhsa_user_sgpr_kernarg_preload_offset 0
		.amdhsa_user_sgpr_private_segment_size 0
		.amdhsa_uses_dynamic_stack 0
		.amdhsa_enable_private_segment 0
		.amdhsa_system_sgpr_workgroup_id_x 1
		.amdhsa_system_sgpr_workgroup_id_y 0
		.amdhsa_system_sgpr_workgroup_id_z 0
		.amdhsa_system_sgpr_workgroup_info 0
		.amdhsa_system_vgpr_workitem_id 0
		.amdhsa_next_free_vgpr 126
		.amdhsa_next_free_sgpr 28
		.amdhsa_accum_offset 128
		.amdhsa_reserve_vcc 1
		.amdhsa_float_round_mode_32 0
		.amdhsa_float_round_mode_16_64 0
		.amdhsa_float_denorm_mode_32 3
		.amdhsa_float_denorm_mode_16_64 3
		.amdhsa_dx10_clamp 1
		.amdhsa_ieee_mode 1
		.amdhsa_fp16_overflow 0
		.amdhsa_tg_split 0
		.amdhsa_exception_fp_ieee_invalid_op 0
		.amdhsa_exception_fp_denorm_src 0
		.amdhsa_exception_fp_ieee_div_zero 0
		.amdhsa_exception_fp_ieee_overflow 0
		.amdhsa_exception_fp_ieee_underflow 0
		.amdhsa_exception_fp_ieee_inexact 0
		.amdhsa_exception_int_div_zero 0
	.end_amdhsa_kernel
	.text
.Lfunc_end0:
	.size	fft_rtc_back_len462_factors_11_6_7_wgs_231_tpt_77_sp_ip_CI_unitstride_sbrr_dirReg, .Lfunc_end0-fft_rtc_back_len462_factors_11_6_7_wgs_231_tpt_77_sp_ip_CI_unitstride_sbrr_dirReg
                                        ; -- End function
	.section	.AMDGPU.csdata,"",@progbits
; Kernel info:
; codeLenInByte = 5148
; NumSgprs: 34
; NumVgprs: 126
; NumAgprs: 0
; TotalNumVgprs: 126
; ScratchSize: 0
; MemoryBound: 0
; FloatMode: 240
; IeeeMode: 1
; LDSByteSize: 0 bytes/workgroup (compile time only)
; SGPRBlocks: 4
; VGPRBlocks: 15
; NumSGPRsForWavesPerEU: 34
; NumVGPRsForWavesPerEU: 126
; AccumOffset: 128
; Occupancy: 4
; WaveLimiterHint : 1
; COMPUTE_PGM_RSRC2:SCRATCH_EN: 0
; COMPUTE_PGM_RSRC2:USER_SGPR: 2
; COMPUTE_PGM_RSRC2:TRAP_HANDLER: 0
; COMPUTE_PGM_RSRC2:TGID_X_EN: 1
; COMPUTE_PGM_RSRC2:TGID_Y_EN: 0
; COMPUTE_PGM_RSRC2:TGID_Z_EN: 0
; COMPUTE_PGM_RSRC2:TIDIG_COMP_CNT: 0
; COMPUTE_PGM_RSRC3_GFX90A:ACCUM_OFFSET: 31
; COMPUTE_PGM_RSRC3_GFX90A:TG_SPLIT: 0
	.text
	.p2alignl 6, 3212836864
	.fill 256, 4, 3212836864
	.type	__hip_cuid_70a1aed0b2b8f2b9,@object ; @__hip_cuid_70a1aed0b2b8f2b9
	.section	.bss,"aw",@nobits
	.globl	__hip_cuid_70a1aed0b2b8f2b9
__hip_cuid_70a1aed0b2b8f2b9:
	.byte	0                               ; 0x0
	.size	__hip_cuid_70a1aed0b2b8f2b9, 1

	.ident	"AMD clang version 19.0.0git (https://github.com/RadeonOpenCompute/llvm-project roc-6.4.0 25133 c7fe45cf4b819c5991fe208aaa96edf142730f1d)"
	.section	".note.GNU-stack","",@progbits
	.addrsig
	.addrsig_sym __hip_cuid_70a1aed0b2b8f2b9
	.amdgpu_metadata
---
amdhsa.kernels:
  - .agpr_count:     0
    .args:
      - .actual_access:  read_only
        .address_space:  global
        .offset:         0
        .size:           8
        .value_kind:     global_buffer
      - .offset:         8
        .size:           8
        .value_kind:     by_value
      - .actual_access:  read_only
        .address_space:  global
        .offset:         16
        .size:           8
        .value_kind:     global_buffer
      - .actual_access:  read_only
        .address_space:  global
        .offset:         24
        .size:           8
        .value_kind:     global_buffer
      - .offset:         32
        .size:           8
        .value_kind:     by_value
      - .actual_access:  read_only
        .address_space:  global
        .offset:         40
        .size:           8
        .value_kind:     global_buffer
      - .actual_access:  read_only
        .address_space:  global
        .offset:         48
        .size:           8
        .value_kind:     global_buffer
      - .offset:         56
        .size:           4
        .value_kind:     by_value
      - .actual_access:  read_only
        .address_space:  global
        .offset:         64
        .size:           8
        .value_kind:     global_buffer
      - .actual_access:  read_only
        .address_space:  global
        .offset:         72
        .size:           8
        .value_kind:     global_buffer
      - .address_space:  global
        .offset:         80
        .size:           8
        .value_kind:     global_buffer
    .group_segment_fixed_size: 0
    .kernarg_segment_align: 8
    .kernarg_segment_size: 88
    .language:       OpenCL C
    .language_version:
      - 2
      - 0
    .max_flat_workgroup_size: 231
    .name:           fft_rtc_back_len462_factors_11_6_7_wgs_231_tpt_77_sp_ip_CI_unitstride_sbrr_dirReg
    .private_segment_fixed_size: 0
    .sgpr_count:     34
    .sgpr_spill_count: 0
    .symbol:         fft_rtc_back_len462_factors_11_6_7_wgs_231_tpt_77_sp_ip_CI_unitstride_sbrr_dirReg.kd
    .uniform_work_group_size: 1
    .uses_dynamic_stack: false
    .vgpr_count:     126
    .vgpr_spill_count: 0
    .wavefront_size: 64
amdhsa.target:   amdgcn-amd-amdhsa--gfx950
amdhsa.version:
  - 1
  - 2
...

	.end_amdgpu_metadata
